;; amdgpu-corpus repo=ROCm/rocFFT kind=compiled arch=gfx906 opt=O3
	.text
	.amdgcn_target "amdgcn-amd-amdhsa--gfx906"
	.amdhsa_code_object_version 6
	.protected	fft_rtc_fwd_len160_factors_4_10_4_wgs_192_tpt_16_dp_op_CI_CI_sbcc_twdbase8_2step_dirReg ; -- Begin function fft_rtc_fwd_len160_factors_4_10_4_wgs_192_tpt_16_dp_op_CI_CI_sbcc_twdbase8_2step_dirReg
	.globl	fft_rtc_fwd_len160_factors_4_10_4_wgs_192_tpt_16_dp_op_CI_CI_sbcc_twdbase8_2step_dirReg
	.p2align	8
	.type	fft_rtc_fwd_len160_factors_4_10_4_wgs_192_tpt_16_dp_op_CI_CI_sbcc_twdbase8_2step_dirReg,@function
fft_rtc_fwd_len160_factors_4_10_4_wgs_192_tpt_16_dp_op_CI_CI_sbcc_twdbase8_2step_dirReg: ; @fft_rtc_fwd_len160_factors_4_10_4_wgs_192_tpt_16_dp_op_CI_CI_sbcc_twdbase8_2step_dirReg
; %bb.0:
	s_load_dwordx4 s[0:3], s[4:5], 0x18
	s_load_dwordx2 s[30:31], s[4:5], 0x28
	s_mov_b32 s7, 0
	s_mov_b64 s[28:29], 0
	s_waitcnt lgkmcnt(0)
	s_load_dwordx2 s[24:25], s[0:1], 0x8
	s_waitcnt lgkmcnt(0)
	s_add_u32 s8, s24, -1
	s_addc_u32 s9, s25, -1
	s_add_u32 s10, 0, 0x55540000
	s_addc_u32 s11, 0, 0x55
	s_mul_hi_u32 s13, s10, -12
	s_add_i32 s11, s11, 0x15555500
	s_sub_i32 s13, s13, s10
	s_mul_i32 s16, s11, -12
	s_mul_i32 s12, s10, -12
	s_add_i32 s13, s13, s16
	s_mul_hi_u32 s14, s11, s12
	s_mul_i32 s15, s11, s12
	s_mul_i32 s17, s10, s13
	s_mul_hi_u32 s12, s10, s12
	s_mul_hi_u32 s16, s10, s13
	s_add_u32 s12, s12, s17
	s_addc_u32 s16, 0, s16
	s_add_u32 s12, s12, s15
	s_mul_hi_u32 s17, s11, s13
	s_addc_u32 s12, s16, s14
	s_addc_u32 s14, s17, 0
	s_mul_i32 s13, s11, s13
	s_add_u32 s12, s12, s13
	v_mov_b32_e32 v1, s12
	s_addc_u32 s13, 0, s14
	v_add_co_u32_e32 v1, vcc, s10, v1
	s_cmp_lg_u64 vcc, 0
	s_addc_u32 s10, s11, s13
	v_readfirstlane_b32 s13, v1
	s_mul_i32 s12, s8, s10
	s_mul_hi_u32 s14, s8, s13
	s_mul_hi_u32 s11, s8, s10
	s_add_u32 s12, s14, s12
	s_addc_u32 s11, 0, s11
	s_mul_hi_u32 s15, s9, s13
	s_mul_i32 s13, s9, s13
	s_add_u32 s12, s12, s13
	s_mul_hi_u32 s14, s9, s10
	s_addc_u32 s11, s11, s15
	s_addc_u32 s12, s14, 0
	s_mul_i32 s10, s9, s10
	s_add_u32 s10, s11, s10
	s_addc_u32 s11, 0, s12
	s_add_u32 s12, s10, 1
	s_addc_u32 s13, s11, 0
	s_add_u32 s14, s10, 2
	s_mul_i32 s16, s11, 12
	s_mul_hi_u32 s17, s10, 12
	s_addc_u32 s15, s11, 0
	s_add_i32 s17, s17, s16
	s_mul_i32 s16, s10, 12
	v_mov_b32_e32 v1, s16
	v_sub_co_u32_e32 v1, vcc, s8, v1
	s_cmp_lg_u64 vcc, 0
	s_subb_u32 s8, s9, s17
	v_subrev_co_u32_e32 v2, vcc, 12, v1
	s_cmp_lg_u64 vcc, 0
	s_subb_u32 s9, s8, 0
	v_readfirstlane_b32 s16, v2
	s_cmp_gt_u32 s16, 11
	s_cselect_b32 s16, -1, 0
	s_cmp_eq_u32 s9, 0
	s_cselect_b32 s9, s16, -1
	s_cmp_lg_u32 s9, 0
	s_cselect_b32 s9, s14, s12
	s_cselect_b32 s12, s15, s13
	v_readfirstlane_b32 s13, v1
	s_cmp_gt_u32 s13, 11
	s_cselect_b32 s13, -1, 0
	s_cmp_eq_u32 s8, 0
	s_cselect_b32 s8, s13, -1
	s_cmp_lg_u32 s8, 0
	s_cselect_b32 s9, s9, s10
	s_cselect_b32 s8, s12, s11
	s_add_u32 s34, s9, 1
	s_addc_u32 s35, s8, 0
	v_mov_b32_e32 v1, s34
	v_mov_b32_e32 v2, s35
	v_cmp_lt_u64_e32 vcc, s[6:7], v[1:2]
	s_cbranch_vccnz .LBB0_2
; %bb.1:
	v_cvt_f32_u32_e32 v1, s34
	s_sub_i32 s8, 0, s34
	s_mov_b32 s29, s7
	v_rcp_iflag_f32_e32 v1, v1
	v_mul_f32_e32 v1, 0x4f7ffffe, v1
	v_cvt_u32_f32_e32 v1, v1
	v_readfirstlane_b32 s9, v1
	s_mul_i32 s8, s8, s9
	s_mul_hi_u32 s8, s9, s8
	s_add_i32 s9, s9, s8
	s_mul_hi_u32 s8, s6, s9
	s_mul_i32 s10, s8, s34
	s_sub_i32 s10, s6, s10
	s_add_i32 s9, s8, 1
	s_sub_i32 s11, s10, s34
	s_cmp_ge_u32 s10, s34
	s_cselect_b32 s8, s9, s8
	s_cselect_b32 s10, s11, s10
	s_add_i32 s9, s8, 1
	s_cmp_ge_u32 s10, s34
	s_cselect_b32 s28, s9, s8
.LBB0_2:
	s_load_dwordx4 s[12:15], s[4:5], 0x60
	s_load_dwordx4 s[20:23], s[2:3], 0x0
	;; [unrolled: 1-line block ×3, first 2 shown]
	s_load_dwordx2 s[26:27], s[4:5], 0x0
	s_load_dwordx4 s[16:19], s[4:5], 0x8
	s_mul_i32 s4, s28, s35
	s_mul_hi_u32 s5, s28, s34
	s_add_i32 s5, s5, s4
	s_mul_i32 s4, s28, s34
	s_sub_u32 s49, s6, s4
	s_subb_u32 s4, 0, s5
	s_mul_i32 s4, s4, 12
	s_mul_hi_u32 s50, s49, 12
	s_add_i32 s50, s50, s4
	s_mul_i32 s49, s49, 12
	s_waitcnt lgkmcnt(0)
	s_mul_i32 s4, s22, s50
	s_mul_hi_u32 s5, s22, s49
	s_add_i32 s4, s5, s4
	s_mul_i32 s5, s23, s49
	s_add_i32 s51, s4, s5
	s_mul_i32 s4, s10, s50
	s_mul_hi_u32 s5, s10, s49
	s_add_i32 s4, s5, s4
	s_mul_i32 s5, s11, s49
	s_add_i32 s33, s4, s5
	v_cmp_lt_u64_e64 s[4:5], s[18:19], 3
	s_mul_i32 s52, s22, s49
	s_mul_i32 s48, s10, s49
	s_and_b64 vcc, exec, s[4:5]
	s_cbranch_vccnz .LBB0_12
; %bb.3:
	s_add_u32 s4, s30, 16
	s_addc_u32 s5, s31, 0
	s_add_u32 s36, s2, 16
	s_addc_u32 s37, s3, 0
	s_add_u32 s38, s0, 16
	v_mov_b32_e32 v1, s18
	s_addc_u32 s39, s1, 0
	s_mov_b64 s[40:41], 2
	s_mov_b32 s42, 0
	v_mov_b32_e32 v2, s19
.LBB0_4:                                ; =>This Inner Loop Header: Depth=1
	s_load_dwordx2 s[44:45], s[38:39], 0x0
	s_waitcnt lgkmcnt(0)
	s_or_b64 s[0:1], s[28:29], s[44:45]
	s_mov_b32 s43, s1
	s_cmp_lg_u64 s[42:43], 0
	s_cbranch_scc0 .LBB0_9
; %bb.5:                                ;   in Loop: Header=BB0_4 Depth=1
	v_cvt_f32_u32_e32 v3, s44
	v_cvt_f32_u32_e32 v4, s45
	s_sub_u32 s0, 0, s44
	s_subb_u32 s1, 0, s45
	v_mac_f32_e32 v3, 0x4f800000, v4
	v_rcp_f32_e32 v3, v3
	v_mul_f32_e32 v3, 0x5f7ffffc, v3
	v_mul_f32_e32 v4, 0x2f800000, v3
	v_trunc_f32_e32 v4, v4
	v_mac_f32_e32 v3, 0xcf800000, v4
	v_cvt_u32_f32_e32 v4, v4
	v_cvt_u32_f32_e32 v3, v3
	v_readfirstlane_b32 s43, v4
	v_readfirstlane_b32 s46, v3
	s_mul_i32 s47, s0, s43
	s_mul_hi_u32 s54, s0, s46
	s_mul_i32 s53, s1, s46
	s_add_i32 s47, s54, s47
	s_mul_i32 s55, s0, s46
	s_add_i32 s47, s47, s53
	s_mul_hi_u32 s53, s46, s47
	s_mul_i32 s54, s46, s47
	s_mul_hi_u32 s46, s46, s55
	s_add_u32 s46, s46, s54
	s_addc_u32 s53, 0, s53
	s_mul_hi_u32 s56, s43, s55
	s_mul_i32 s55, s43, s55
	s_add_u32 s46, s46, s55
	s_mul_hi_u32 s54, s43, s47
	s_addc_u32 s46, s53, s56
	s_addc_u32 s53, s54, 0
	s_mul_i32 s47, s43, s47
	s_add_u32 s46, s46, s47
	s_addc_u32 s47, 0, s53
	v_add_co_u32_e32 v3, vcc, s46, v3
	s_cmp_lg_u64 vcc, 0
	s_addc_u32 s43, s43, s47
	v_readfirstlane_b32 s47, v3
	s_mul_i32 s46, s0, s43
	s_mul_hi_u32 s53, s0, s47
	s_add_i32 s46, s53, s46
	s_mul_i32 s1, s1, s47
	s_add_i32 s46, s46, s1
	s_mul_i32 s0, s0, s47
	s_mul_hi_u32 s53, s43, s0
	s_mul_i32 s54, s43, s0
	s_mul_i32 s56, s47, s46
	s_mul_hi_u32 s0, s47, s0
	s_mul_hi_u32 s55, s47, s46
	s_add_u32 s0, s0, s56
	s_addc_u32 s47, 0, s55
	s_add_u32 s0, s0, s54
	s_mul_hi_u32 s1, s43, s46
	s_addc_u32 s0, s47, s53
	s_addc_u32 s1, s1, 0
	s_mul_i32 s46, s43, s46
	s_add_u32 s0, s0, s46
	s_addc_u32 s1, 0, s1
	v_add_co_u32_e32 v3, vcc, s0, v3
	s_cmp_lg_u64 vcc, 0
	s_addc_u32 s0, s43, s1
	v_readfirstlane_b32 s46, v3
	s_mul_i32 s43, s28, s0
	s_mul_hi_u32 s47, s28, s46
	s_mul_hi_u32 s1, s28, s0
	s_add_u32 s43, s47, s43
	s_addc_u32 s1, 0, s1
	s_mul_hi_u32 s53, s29, s46
	s_mul_i32 s46, s29, s46
	s_add_u32 s43, s43, s46
	s_mul_hi_u32 s47, s29, s0
	s_addc_u32 s1, s1, s53
	s_addc_u32 s43, s47, 0
	s_mul_i32 s0, s29, s0
	s_add_u32 s46, s1, s0
	s_addc_u32 s43, 0, s43
	s_mul_i32 s0, s44, s43
	s_mul_hi_u32 s1, s44, s46
	s_add_i32 s0, s1, s0
	s_mul_i32 s1, s45, s46
	s_add_i32 s47, s0, s1
	s_mul_i32 s1, s44, s46
	v_mov_b32_e32 v3, s1
	s_sub_i32 s0, s29, s47
	v_sub_co_u32_e32 v3, vcc, s28, v3
	s_cmp_lg_u64 vcc, 0
	s_subb_u32 s53, s0, s45
	v_subrev_co_u32_e64 v4, s[0:1], s44, v3
	s_cmp_lg_u64 s[0:1], 0
	s_subb_u32 s0, s53, 0
	s_cmp_ge_u32 s0, s45
	v_readfirstlane_b32 s53, v4
	s_cselect_b32 s1, -1, 0
	s_cmp_ge_u32 s53, s44
	s_cselect_b32 s53, -1, 0
	s_cmp_eq_u32 s0, s45
	s_cselect_b32 s0, s53, s1
	s_add_u32 s1, s46, 1
	s_addc_u32 s53, s43, 0
	s_add_u32 s54, s46, 2
	s_addc_u32 s55, s43, 0
	s_cmp_lg_u32 s0, 0
	s_cselect_b32 s0, s54, s1
	s_cselect_b32 s1, s55, s53
	s_cmp_lg_u64 vcc, 0
	s_subb_u32 s47, s29, s47
	s_cmp_ge_u32 s47, s45
	v_readfirstlane_b32 s54, v3
	s_cselect_b32 s53, -1, 0
	s_cmp_ge_u32 s54, s44
	s_cselect_b32 s54, -1, 0
	s_cmp_eq_u32 s47, s45
	s_cselect_b32 s47, s54, s53
	s_cmp_lg_u32 s47, 0
	s_cselect_b32 s1, s1, s43
	s_cselect_b32 s0, s0, s46
	s_cbranch_execnz .LBB0_7
.LBB0_6:                                ;   in Loop: Header=BB0_4 Depth=1
	v_cvt_f32_u32_e32 v3, s44
	s_sub_i32 s0, 0, s44
	v_rcp_iflag_f32_e32 v3, v3
	v_mul_f32_e32 v3, 0x4f7ffffe, v3
	v_cvt_u32_f32_e32 v3, v3
	v_readfirstlane_b32 s1, v3
	s_mul_i32 s0, s0, s1
	s_mul_hi_u32 s0, s1, s0
	s_add_i32 s1, s1, s0
	s_mul_hi_u32 s0, s28, s1
	s_mul_i32 s43, s0, s44
	s_sub_i32 s43, s28, s43
	s_add_i32 s1, s0, 1
	s_sub_i32 s46, s43, s44
	s_cmp_ge_u32 s43, s44
	s_cselect_b32 s0, s1, s0
	s_cselect_b32 s43, s46, s43
	s_add_i32 s1, s0, 1
	s_cmp_ge_u32 s43, s44
	s_cselect_b32 s0, s1, s0
	s_mov_b32 s1, s42
.LBB0_7:                                ;   in Loop: Header=BB0_4 Depth=1
	s_mul_i32 s35, s44, s35
	s_mul_hi_u32 s43, s44, s34
	s_add_i32 s35, s43, s35
	s_mul_i32 s43, s45, s34
	s_add_i32 s35, s35, s43
	s_mul_i32 s43, s0, s45
	s_mul_hi_u32 s45, s0, s44
	s_load_dwordx2 s[46:47], s[36:37], 0x0
	s_add_i32 s43, s45, s43
	s_mul_i32 s45, s1, s44
	s_mul_i32 s34, s44, s34
	s_add_i32 s43, s43, s45
	s_mul_i32 s44, s0, s44
	s_sub_u32 s44, s28, s44
	s_subb_u32 s43, s29, s43
	s_waitcnt lgkmcnt(0)
	s_mul_i32 s28, s46, s43
	s_mul_hi_u32 s29, s46, s44
	s_add_i32 s45, s29, s28
	s_load_dwordx2 s[28:29], s[4:5], 0x0
	s_mul_i32 s47, s47, s44
	s_add_i32 s45, s45, s47
	s_mul_i32 s46, s46, s44
	s_add_u32 s52, s46, s52
	s_addc_u32 s51, s45, s51
	s_waitcnt lgkmcnt(0)
	s_mul_i32 s43, s28, s43
	s_mul_hi_u32 s45, s28, s44
	s_add_i32 s43, s45, s43
	s_mul_i32 s29, s29, s44
	s_add_i32 s43, s43, s29
	s_mul_i32 s28, s28, s44
	s_add_u32 s48, s28, s48
	s_addc_u32 s33, s43, s33
	s_add_u32 s40, s40, 1
	s_addc_u32 s41, s41, 0
	;; [unrolled: 2-line block ×4, first 2 shown]
	v_cmp_ge_u64_e32 vcc, s[40:41], v[1:2]
	s_add_u32 s38, s38, 8
	s_addc_u32 s39, s39, 0
	s_cbranch_vccnz .LBB0_10
; %bb.8:                                ;   in Loop: Header=BB0_4 Depth=1
	s_mov_b64 s[28:29], s[0:1]
	s_branch .LBB0_4
.LBB0_9:                                ;   in Loop: Header=BB0_4 Depth=1
                                        ; implicit-def: $sgpr0_sgpr1
	s_branch .LBB0_6
.LBB0_10:
	v_mov_b32_e32 v1, s34
	v_mov_b32_e32 v2, s35
	v_cmp_lt_u64_e32 vcc, s[6:7], v[1:2]
	s_mov_b64 s[28:29], 0
	s_cbranch_vccnz .LBB0_12
; %bb.11:
	v_cvt_f32_u32_e32 v1, s34
	s_sub_i32 s0, 0, s34
	v_rcp_iflag_f32_e32 v1, v1
	v_mul_f32_e32 v1, 0x4f7ffffe, v1
	v_cvt_u32_f32_e32 v1, v1
	v_readfirstlane_b32 s1, v1
	s_mul_i32 s0, s0, s1
	s_mul_hi_u32 s0, s1, s0
	s_add_i32 s1, s1, s0
	s_mul_hi_u32 s0, s6, s1
	s_mul_i32 s4, s0, s34
	s_sub_i32 s4, s6, s4
	s_add_i32 s1, s0, 1
	s_sub_i32 s5, s4, s34
	s_cmp_ge_u32 s4, s34
	s_cselect_b32 s0, s1, s0
	s_cselect_b32 s4, s5, s4
	s_add_i32 s1, s0, 1
	s_cmp_ge_u32 s4, s34
	s_cselect_b32 s28, s1, s0
.LBB0_12:
	s_lshl_b64 s[0:1], s[18:19], 3
	s_add_u32 s2, s2, s0
	s_addc_u32 s3, s3, s1
	s_load_dwordx2 s[2:3], s[2:3], 0x0
	v_mul_u32_u24_e32 v1, 0x1556, v0
	v_lshrrev_b32_e32 v97, 16, v1
	v_mul_lo_u16_e32 v1, 12, v97
	v_sub_u16_e32 v99, v0, v1
	s_waitcnt lgkmcnt(0)
	s_mul_i32 s3, s3, s28
	s_mul_hi_u32 s4, s2, s28
	s_mul_i32 s2, s2, s28
	s_add_i32 s4, s4, s3
	s_add_u32 s2, s2, s52
	s_addc_u32 s3, s4, s51
	s_add_u32 s0, s30, s0
	s_addc_u32 s1, s31, s1
	s_load_dwordx2 s[4:5], s[0:1], 0x0
	s_add_u32 s0, s49, 12
	v_mov_b32_e32 v1, s24
	s_addc_u32 s1, s50, 0
	v_mov_b32_e32 v2, s25
	v_mov_b32_e32 v3, s50
	v_cmp_le_u64_e64 s[0:1], s[0:1], v[1:2]
	v_add_co_u32_e32 v93, vcc, s49, v99
	v_addc_co_u32_e32 v94, vcc, 0, v3, vcc
	s_and_b64 vcc, exec, s[0:1]
	v_add_u32_e32 v98, 40, v97
	v_add_u32_e32 v49, 16, v97
	s_cbranch_vccz .LBB0_16
; %bb.13:
	v_mad_u64_u32 v[1:2], s[6:7], s22, v99, 0
	v_mad_u64_u32 v[3:4], s[6:7], s20, v97, 0
	v_add_u32_e32 v100, 16, v97
	v_mad_u64_u32 v[5:6], s[6:7], s23, v99, v[2:3]
	v_mov_b32_e32 v2, v4
	v_mad_u64_u32 v[6:7], s[6:7], s21, v97, v[2:3]
	s_lshl_b64 s[6:7], s[2:3], 4
	s_add_u32 s18, s12, s6
	s_addc_u32 s6, s13, s7
	v_mov_b32_e32 v2, v5
	v_mov_b32_e32 v4, v6
	;; [unrolled: 1-line block ×3, first 2 shown]
	v_mad_u64_u32 v[5:6], s[6:7], s20, v98, 0
	v_lshlrev_b64 v[1:2], 4, v[1:2]
	v_add_co_u32_e32 v43, vcc, s18, v1
	v_addc_co_u32_e32 v44, vcc, v7, v2, vcc
	v_lshlrev_b64 v[1:2], 4, v[3:4]
	v_mov_b32_e32 v3, v6
	v_mad_u64_u32 v[3:4], s[6:7], s21, v98, v[3:4]
	v_add_u32_e32 v4, 0x50, v97
	v_mad_u64_u32 v[7:8], s[6:7], s20, v4, 0
	v_add_co_u32_e32 v33, vcc, v43, v1
	v_mov_b32_e32 v6, v3
	v_mov_b32_e32 v3, v8
	v_addc_co_u32_e32 v34, vcc, v44, v2, vcc
	v_lshlrev_b64 v[1:2], 4, v[5:6]
	v_mad_u64_u32 v[3:4], s[6:7], s21, v4, v[3:4]
	v_add_u32_e32 v6, 0x78, v97
	v_mad_u64_u32 v[4:5], s[6:7], s20, v6, 0
	v_mov_b32_e32 v8, v3
	v_add_co_u32_e32 v35, vcc, v43, v1
	v_mov_b32_e32 v3, v5
	v_mad_u64_u32 v[5:6], s[6:7], s21, v6, v[3:4]
	v_addc_co_u32_e32 v36, vcc, v44, v2, vcc
	v_lshlrev_b64 v[1:2], 4, v[7:8]
	v_mad_u64_u32 v[6:7], s[6:7], s20, v100, 0
	v_add_co_u32_e32 v37, vcc, v43, v1
	v_mov_b32_e32 v3, v7
	v_addc_co_u32_e32 v38, vcc, v44, v2, vcc
	v_lshlrev_b64 v[1:2], 4, v[4:5]
	v_mad_u64_u32 v[3:4], s[6:7], s21, v100, v[3:4]
	v_add_u32_e32 v8, 56, v97
	v_mad_u64_u32 v[4:5], s[6:7], s20, v8, 0
	v_add_co_u32_e32 v39, vcc, v43, v1
	v_mov_b32_e32 v7, v3
	v_mov_b32_e32 v3, v5
	v_addc_co_u32_e32 v40, vcc, v44, v2, vcc
	v_lshlrev_b64 v[1:2], 4, v[6:7]
	v_mad_u64_u32 v[5:6], s[6:7], s21, v8, v[3:4]
	v_or_b32_e32 v8, 0x60, v97
	v_mad_u64_u32 v[6:7], s[6:7], s20, v8, 0
	v_add_co_u32_e32 v41, vcc, v43, v1
	v_mov_b32_e32 v3, v7
	v_addc_co_u32_e32 v42, vcc, v44, v2, vcc
	v_lshlrev_b64 v[1:2], 4, v[4:5]
	v_mad_u64_u32 v[3:4], s[6:7], s21, v8, v[3:4]
	v_add_u32_e32 v8, 0x88, v97
	v_mad_u64_u32 v[4:5], s[6:7], s20, v8, 0
	v_add_co_u32_e32 v45, vcc, v43, v1
	v_mov_b32_e32 v7, v3
	v_mov_b32_e32 v3, v5
	v_addc_co_u32_e32 v46, vcc, v44, v2, vcc
	v_lshlrev_b64 v[1:2], 4, v[6:7]
	v_mad_u64_u32 v[5:6], s[6:7], s21, v8, v[3:4]
	v_add_co_u32_e32 v47, vcc, v43, v1
	v_addc_co_u32_e32 v48, vcc, v44, v2, vcc
	v_lshlrev_b64 v[1:2], 4, v[4:5]
	s_movk_i32 s6, 0x60
	v_add_co_u32_e32 v50, vcc, v43, v1
	v_addc_co_u32_e32 v51, vcc, v44, v2, vcc
	global_load_dwordx4 v[1:4], v[33:34], off
	global_load_dwordx4 v[5:8], v[35:36], off
	;; [unrolled: 1-line block ×8, first 2 shown]
	v_cmp_gt_u32_e32 vcc, s6, v0
                                        ; implicit-def: $vgpr33_vgpr34
                                        ; implicit-def: $vgpr41_vgpr42
                                        ; implicit-def: $vgpr45_vgpr46
                                        ; implicit-def: $vgpr37_vgpr38
	s_and_saveexec_b64 s[6:7], vcc
	s_cbranch_execz .LBB0_15
; %bb.14:
	v_or_b32_e32 v37, 32, v97
	v_add_u32_e32 v39, 0x48, v97
	v_mad_u64_u32 v[33:34], s[18:19], s20, v37, 0
	v_mad_u64_u32 v[35:36], s[18:19], s20, v39, 0
	v_add_u32_e32 v53, 0x98, v97
	v_mad_u64_u32 v[37:38], s[18:19], s21, v37, v[34:35]
	v_mov_b32_e32 v34, v37
	v_mad_u64_u32 v[36:37], s[18:19], s21, v39, v[36:37]
	v_lshlrev_b64 v[33:34], 4, v[33:34]
	v_add_co_u32_e32 v41, vcc, v43, v33
	v_addc_co_u32_e32 v42, vcc, v44, v34, vcc
	v_lshlrev_b64 v[33:34], 4, v[35:36]
	v_or_b32_e32 v35, 0x70, v97
	v_mad_u64_u32 v[45:46], s[18:19], s20, v35, 0
	v_add_co_u32_e32 v47, vcc, v43, v33
	v_mov_b32_e32 v33, v46
	v_mad_u64_u32 v[50:51], s[18:19], s21, v35, v[33:34]
	v_mad_u64_u32 v[51:52], s[18:19], s20, v53, 0
	v_mov_b32_e32 v46, v50
	v_addc_co_u32_e32 v48, vcc, v44, v34, vcc
	global_load_dwordx4 v[33:36], v[41:42], off
	global_load_dwordx4 v[37:40], v[47:48], off
	v_lshlrev_b64 v[41:42], 4, v[45:46]
	v_mov_b32_e32 v45, v52
	v_mad_u64_u32 v[45:46], s[18:19], s21, v53, v[45:46]
	v_add_co_u32_e32 v53, vcc, v43, v41
	v_mov_b32_e32 v52, v45
	v_addc_co_u32_e32 v54, vcc, v44, v42, vcc
	v_lshlrev_b64 v[41:42], 4, v[51:52]
	v_add_co_u32_e32 v50, vcc, v43, v41
	v_addc_co_u32_e32 v51, vcc, v44, v42, vcc
	global_load_dwordx4 v[45:48], v[53:54], off
	global_load_dwordx4 v[41:44], v[50:51], off
.LBB0_15:
	s_or_b64 exec, exec, s[6:7]
	s_cbranch_execz .LBB0_17
	s_branch .LBB0_24
.LBB0_16:
                                        ; implicit-def: $vgpr1_vgpr2
                                        ; implicit-def: $vgpr13_vgpr14
                                        ; implicit-def: $vgpr9_vgpr10
                                        ; implicit-def: $vgpr21_vgpr22
                                        ; implicit-def: $vgpr33_vgpr34
                                        ; implicit-def: $vgpr100
                                        ; implicit-def: $vgpr41_vgpr42
                                        ; implicit-def: $vgpr45_vgpr46
                                        ; implicit-def: $vgpr37_vgpr38
                                        ; implicit-def: $vgpr29_vgpr30
                                        ; implicit-def: $vgpr17_vgpr18
                                        ; implicit-def: $vgpr25_vgpr26
                                        ; implicit-def: $vgpr5_vgpr6
.LBB0_17:
	v_cmp_le_u64_e32 vcc, s[24:25], v[93:94]
                                        ; implicit-def: $vgpr100
	s_and_saveexec_b64 s[6:7], vcc
	s_xor_b64 s[6:7], exec, s[6:7]
; %bb.18:
	v_add_u32_e32 v100, 16, v97
                                        ; implicit-def: $vgpr49
; %bb.19:
	s_or_saveexec_b64 s[6:7], s[6:7]
                                        ; implicit-def: $vgpr1_vgpr2
                                        ; implicit-def: $vgpr13_vgpr14
                                        ; implicit-def: $vgpr9_vgpr10
                                        ; implicit-def: $vgpr21_vgpr22
                                        ; implicit-def: $vgpr33_vgpr34
                                        ; implicit-def: $vgpr41_vgpr42
                                        ; implicit-def: $vgpr45_vgpr46
                                        ; implicit-def: $vgpr37_vgpr38
                                        ; implicit-def: $vgpr29_vgpr30
                                        ; implicit-def: $vgpr17_vgpr18
                                        ; implicit-def: $vgpr25_vgpr26
                                        ; implicit-def: $vgpr5_vgpr6
	s_xor_b64 exec, exec, s[6:7]
	s_cbranch_execz .LBB0_23
; %bb.20:
	s_waitcnt vmcnt(7)
	v_mad_u64_u32 v[1:2], s[18:19], s22, v99, 0
	v_mad_u64_u32 v[3:4], s[18:19], s20, v97, 0
	s_lshl_b64 s[2:3], s[2:3], 4
	s_add_u32 s12, s12, s2
	s_waitcnt vmcnt(6)
	v_mad_u64_u32 v[5:6], s[18:19], s23, v99, v[2:3]
	v_mov_b32_e32 v2, v4
	v_mad_u64_u32 v[6:7], s[18:19], s21, v97, v[2:3]
	s_addc_u32 s2, s13, s3
	v_mov_b32_e32 v2, v5
	v_mov_b32_e32 v4, v6
	;; [unrolled: 1-line block ×3, first 2 shown]
	v_mad_u64_u32 v[5:6], s[2:3], s20, v98, 0
	v_lshlrev_b64 v[1:2], 4, v[1:2]
	s_waitcnt vmcnt(2)
	v_add_u32_e32 v18, 0x78, v97
	s_waitcnt vmcnt(0)
	v_add_co_u32_e32 v43, vcc, s12, v1
	v_addc_co_u32_e32 v44, vcc, v7, v2, vcc
	v_lshlrev_b64 v[1:2], 4, v[3:4]
	v_mov_b32_e32 v3, v6
	v_mad_u64_u32 v[3:4], s[2:3], s21, v98, v[3:4]
	v_add_co_u32_e32 v9, vcc, v43, v1
	v_mov_b32_e32 v6, v3
	v_add_u32_e32 v3, 0x50, v97
	v_mad_u64_u32 v[11:12], s[2:3], s20, v3, 0
	v_addc_co_u32_e32 v10, vcc, v44, v2, vcc
	v_lshlrev_b64 v[1:2], 4, v[5:6]
	v_add_u32_e32 v21, 56, v97
	v_add_co_u32_e32 v13, vcc, v43, v1
	v_mov_b32_e32 v1, v12
	v_mad_u64_u32 v[15:16], s[2:3], s21, v3, v[1:2]
	v_mad_u64_u32 v[16:17], s[2:3], s20, v18, 0
	v_mov_b32_e32 v12, v15
	v_addc_co_u32_e32 v14, vcc, v44, v2, vcc
	global_load_dwordx4 v[1:4], v[9:10], off
	global_load_dwordx4 v[5:8], v[13:14], off
	v_lshlrev_b64 v[9:10], 4, v[11:12]
	v_mov_b32_e32 v11, v17
	v_mad_u64_u32 v[11:12], s[2:3], s21, v18, v[11:12]
	v_add_co_u32_e32 v9, vcc, v43, v9
	v_mov_b32_e32 v17, v11
	v_lshlrev_b64 v[11:12], 4, v[16:17]
	v_mad_u64_u32 v[17:18], s[2:3], s20, v49, 0
	v_addc_co_u32_e32 v10, vcc, v44, v10, vcc
	v_mov_b32_e32 v13, v18
	v_mad_u64_u32 v[18:19], s[2:3], s21, v49, v[13:14]
	v_mad_u64_u32 v[19:20], s[2:3], s20, v21, 0
	v_add_co_u32_e32 v11, vcc, v43, v11
	v_addc_co_u32_e32 v12, vcc, v44, v12, vcc
	global_load_dwordx4 v[25:28], v[9:10], off
	global_load_dwordx4 v[13:16], v[11:12], off
	v_mov_b32_e32 v11, v20
	v_mad_u64_u32 v[11:12], s[2:3], s21, v21, v[11:12]
	v_lshlrev_b64 v[9:10], 4, v[17:18]
	v_add_u32_e32 v34, 0x88, v97
	v_mov_b32_e32 v20, v11
	v_or_b32_e32 v11, 0x60, v97
	v_mad_u64_u32 v[23:24], s[2:3], s20, v11, 0
	v_add_co_u32_e32 v21, vcc, v43, v9
	v_addc_co_u32_e32 v22, vcc, v44, v10, vcc
	v_lshlrev_b64 v[9:10], 4, v[19:20]
                                        ; implicit-def: $vgpr41_vgpr42
                                        ; implicit-def: $vgpr45_vgpr46
	v_add_co_u32_e32 v29, vcc, v43, v9
	v_mov_b32_e32 v9, v24
	v_mad_u64_u32 v[31:32], s[2:3], s21, v11, v[9:10]
	v_mad_u64_u32 v[32:33], s[2:3], s20, v34, 0
	v_mov_b32_e32 v24, v31
	v_addc_co_u32_e32 v30, vcc, v44, v10, vcc
	global_load_dwordx4 v[9:12], v[21:22], off
	global_load_dwordx4 v[17:20], v[29:30], off
	v_lshlrev_b64 v[21:22], 4, v[23:24]
	v_mov_b32_e32 v23, v33
	v_mad_u64_u32 v[23:24], s[2:3], s21, v34, v[23:24]
	v_add_co_u32_e32 v34, vcc, v43, v21
	v_mov_b32_e32 v33, v23
	v_addc_co_u32_e32 v35, vcc, v44, v22, vcc
	v_lshlrev_b64 v[21:22], 4, v[32:33]
	s_movk_i32 s2, 0x60
	v_add_co_u32_e32 v36, vcc, v43, v21
	v_addc_co_u32_e32 v37, vcc, v44, v22, vcc
	global_load_dwordx4 v[29:32], v[34:35], off
	global_load_dwordx4 v[21:24], v[36:37], off
	v_cmp_gt_u32_e32 vcc, s2, v0
                                        ; implicit-def: $vgpr33_vgpr34
                                        ; implicit-def: $vgpr37_vgpr38
	s_and_saveexec_b64 s[2:3], vcc
	s_cbranch_execz .LBB0_22
; %bb.21:
	v_or_b32_e32 v37, 32, v97
	v_add_u32_e32 v39, 0x48, v97
	v_mad_u64_u32 v[33:34], s[12:13], s20, v37, 0
	v_mad_u64_u32 v[35:36], s[12:13], s20, v39, 0
	v_add_u32_e32 v53, 0x98, v97
	v_mad_u64_u32 v[37:38], s[12:13], s21, v37, v[34:35]
	v_mov_b32_e32 v34, v37
	v_mad_u64_u32 v[36:37], s[12:13], s21, v39, v[36:37]
	v_lshlrev_b64 v[33:34], 4, v[33:34]
	v_add_co_u32_e32 v41, vcc, v43, v33
	v_addc_co_u32_e32 v42, vcc, v44, v34, vcc
	v_lshlrev_b64 v[33:34], 4, v[35:36]
	v_or_b32_e32 v35, 0x70, v97
	v_mad_u64_u32 v[45:46], s[12:13], s20, v35, 0
	v_add_co_u32_e32 v47, vcc, v43, v33
	v_mov_b32_e32 v33, v46
	v_mad_u64_u32 v[50:51], s[12:13], s21, v35, v[33:34]
	v_mad_u64_u32 v[51:52], s[12:13], s20, v53, 0
	v_mov_b32_e32 v46, v50
	v_addc_co_u32_e32 v48, vcc, v44, v34, vcc
	global_load_dwordx4 v[33:36], v[41:42], off
	global_load_dwordx4 v[37:40], v[47:48], off
	v_lshlrev_b64 v[41:42], 4, v[45:46]
	v_mov_b32_e32 v45, v52
	v_mad_u64_u32 v[45:46], s[12:13], s21, v53, v[45:46]
	v_add_co_u32_e32 v53, vcc, v43, v41
	v_mov_b32_e32 v52, v45
	v_addc_co_u32_e32 v54, vcc, v44, v42, vcc
	v_lshlrev_b64 v[41:42], 4, v[51:52]
	v_add_co_u32_e32 v50, vcc, v43, v41
	v_addc_co_u32_e32 v51, vcc, v44, v42, vcc
	global_load_dwordx4 v[45:48], v[53:54], off
	global_load_dwordx4 v[41:44], v[50:51], off
.LBB0_22:
	s_or_b64 exec, exec, s[2:3]
	v_mov_b32_e32 v100, v49
.LBB0_23:
	s_or_b64 exec, exec, s[6:7]
.LBB0_24:
	s_waitcnt vmcnt(5)
	v_add_f64 v[49:50], v[1:2], -v[25:26]
	v_add_f64 v[51:52], v[3:4], -v[27:28]
	s_waitcnt vmcnt(4)
	v_add_f64 v[27:28], v[5:6], -v[13:14]
	v_add_f64 v[25:26], v[7:8], -v[15:16]
	;; [unrolled: 3-line block ×4, first 2 shown]
	v_fma_f64 v[1:2], v[1:2], 2.0, -v[49:50]
	v_fma_f64 v[3:4], v[3:4], 2.0, -v[51:52]
	;; [unrolled: 1-line block ×4, first 2 shown]
	v_add_f64 v[13:14], v[33:34], -v[45:46]
	v_add_f64 v[15:16], v[35:36], -v[47:48]
	v_fma_f64 v[61:62], v[9:10], 2.0, -v[53:54]
	v_fma_f64 v[9:10], v[19:20], 2.0, -v[59:60]
	v_add_f64 v[19:20], v[39:40], -v[43:44]
	v_add_f64 v[25:26], v[49:50], -v[25:26]
	;; [unrolled: 1-line block ×4, first 2 shown]
	v_fma_f64 v[5:6], v[11:12], 2.0, -v[55:56]
	v_fma_f64 v[7:8], v[17:18], 2.0, -v[57:58]
	v_add_f64 v[17:18], v[37:38], -v[41:42]
	v_add_f64 v[27:28], v[27:28], v[51:52]
	v_fma_f64 v[11:12], v[35:36], 2.0, -v[15:16]
	v_add_f64 v[45:46], v[53:54], -v[59:60]
	v_fma_f64 v[29:30], v[1:2], 2.0, -v[21:22]
	v_fma_f64 v[31:32], v[3:4], 2.0, -v[23:24]
	v_add_f64 v[43:44], v[5:6], -v[9:10]
	v_add_f64 v[41:42], v[61:62], -v[7:8]
	v_fma_f64 v[9:10], v[33:34], 2.0, -v[13:14]
	v_fma_f64 v[1:2], v[37:38], 2.0, -v[17:18]
	v_fma_f64 v[3:4], v[39:40], 2.0, -v[19:20]
	v_add_f64 v[47:48], v[57:58], v[55:56]
	v_fma_f64 v[33:34], v[49:50], 2.0, -v[25:26]
	v_fma_f64 v[35:36], v[51:52], 2.0, -v[27:28]
	;; [unrolled: 1-line block ×4, first 2 shown]
	v_add_f64 v[5:6], v[13:14], -v[19:20]
	v_add_f64 v[1:2], v[9:10], -v[1:2]
	;; [unrolled: 1-line block ×3, first 2 shown]
	v_add_f64 v[7:8], v[17:18], v[15:16]
	v_fma_f64 v[49:50], v[53:54], 2.0, -v[45:46]
	v_fma_f64 v[51:52], v[55:56], 2.0, -v[47:48]
	s_movk_i32 s2, 0x300
	v_mul_lo_u32 v20, v100, s2
	v_mul_u32_u24_e32 v17, 48, v97
	v_lshl_add_u32 v18, v17, 4, 0
	v_lshlrev_b32_e32 v17, 4, v99
	v_add_u32_e32 v19, v18, v17
	ds_write_b128 v19, v[29:32]
	ds_write_b128 v19, v[33:36] offset:192
	ds_write_b128 v19, v[21:24] offset:384
	;; [unrolled: 1-line block ×3, first 2 shown]
	v_add_u32_e32 v19, 0, v20
	s_movk_i32 s2, 0x60
	v_add_u32_e32 v20, v19, v17
	v_cmp_gt_u32_e64 s[2:3], s2, v0
	ds_write_b128 v20, v[37:40]
	ds_write_b128 v20, v[49:52] offset:192
	ds_write_b128 v20, v[41:44] offset:384
	;; [unrolled: 1-line block ×3, first 2 shown]
	s_and_saveexec_b64 s[6:7], s[2:3]
	s_cbranch_execz .LBB0_26
; %bb.25:
	v_fma_f64 v[11:12], v[11:12], 2.0, -v[3:4]
	v_fma_f64 v[9:10], v[9:10], 2.0, -v[1:2]
	;; [unrolled: 1-line block ×4, first 2 shown]
	v_lshl_add_u32 v0, v99, 4, v18
	ds_write_b128 v0, v[1:4] offset:24960
	ds_write_b128 v0, v[9:12] offset:24576
	;; [unrolled: 1-line block ×4, first 2 shown]
.LBB0_26:
	s_or_b64 exec, exec, s[6:7]
	v_and_b32_e32 v0, 3, v97
	v_mul_u32_u24_e32 v9, 9, v0
	v_lshlrev_b32_e32 v48, 4, v9
	s_waitcnt lgkmcnt(0)
	s_barrier
	global_load_dwordx4 v[9:12], v48, s[26:27]
	global_load_dwordx4 v[13:16], v48, s[26:27] offset:16
	global_load_dwordx4 v[20:23], v48, s[26:27] offset:32
	;; [unrolled: 1-line block ×8, first 2 shown]
	s_movk_i32 s6, 0xfdc0
	v_mul_lo_u32 v66, v100, s6
	v_mul_i32_i24_e32 v48, 0xfffffdc0, v97
	v_add3_u32 v49, v18, v48, v17
	ds_read_b128 v[50:53], v49 offset:9216
	ds_read_b128 v[54:57], v49 offset:12288
	;; [unrolled: 1-line block ×4, first 2 shown]
	v_add3_u32 v92, v19, v66, v17
	ds_read_b128 v[66:69], v92
	ds_read_b128 v[70:73], v49 offset:24576
	ds_read_b128 v[74:77], v49 offset:21504
	;; [unrolled: 1-line block ×3, first 2 shown]
	ds_read_b128 v[82:85], v49
	ds_read_b128 v[86:89], v49 offset:27648
	s_mov_b32 s18, 0x134454ff
	s_mov_b32 s19, 0x3fee6f0e
	;; [unrolled: 1-line block ×12, first 2 shown]
	s_waitcnt vmcnt(0) lgkmcnt(0)
	s_barrier
	v_mul_f64 v[18:19], v[68:69], v[11:12]
	v_mul_f64 v[11:12], v[66:67], v[11:12]
	;; [unrolled: 1-line block ×18, first 2 shown]
	v_fma_f64 v[18:19], v[66:67], v[9:10], -v[18:19]
	v_fma_f64 v[9:10], v[68:69], v[9:10], v[11:12]
	v_fma_f64 v[11:12], v[78:79], v[13:14], -v[90:91]
	v_fma_f64 v[13:14], v[80:81], v[13:14], v[15:16]
	;; [unrolled: 2-line block ×5, first 2 shown]
	v_fma_f64 v[30:31], v[62:63], v[32:33], -v[105:106]
	v_fma_f64 v[50:51], v[70:71], v[36:37], -v[107:108]
	v_fma_f64 v[32:33], v[64:65], v[32:33], v[34:35]
	v_fma_f64 v[34:35], v[72:73], v[36:37], v[38:39]
	v_fma_f64 v[36:37], v[74:75], v[40:41], -v[109:110]
	v_fma_f64 v[38:39], v[76:77], v[40:41], v[42:43]
	v_fma_f64 v[40:41], v[86:87], v[44:45], -v[111:112]
	v_fma_f64 v[42:43], v[88:89], v[44:45], v[46:47]
	v_add_f64 v[44:45], v[22:23], v[30:31]
	v_add_f64 v[46:47], v[11:12], v[50:51]
	;; [unrolled: 1-line block ×6, first 2 shown]
	v_add_f64 v[56:57], v[11:12], -v[22:23]
	v_add_f64 v[64:65], v[22:23], -v[11:12]
	;; [unrolled: 1-line block ×7, first 2 shown]
	v_fma_f64 v[44:45], v[44:45], -0.5, v[82:83]
	v_fma_f64 v[46:47], v[46:47], -0.5, v[82:83]
	v_add_f64 v[22:23], v[60:61], v[22:23]
	v_add_f64 v[24:25], v[62:63], v[24:25]
	v_add_f64 v[58:59], v[50:51], -v[30:31]
	v_add_f64 v[66:67], v[30:31], -v[50:51]
	;; [unrolled: 1-line block ×3, first 2 shown]
	v_fma_f64 v[52:53], v[52:53], -0.5, v[84:85]
	v_add_f64 v[70:71], v[34:35], -v[32:33]
	v_add_f64 v[74:75], v[32:33], -v[34:35]
	v_fma_f64 v[54:55], v[54:55], -0.5, v[84:85]
	v_add_f64 v[22:23], v[22:23], v[30:31]
	v_add_f64 v[24:25], v[24:25], v[32:33]
	v_fma_f64 v[30:31], v[13:14], s[18:19], v[44:45]
	v_fma_f64 v[32:33], v[13:14], s[6:7], v[44:45]
	;; [unrolled: 1-line block ×3, first 2 shown]
	v_add_f64 v[56:57], v[56:57], v[58:59]
	v_add_f64 v[58:59], v[64:65], v[66:67]
	v_fma_f64 v[46:47], v[78:79], s[18:19], v[46:47]
	v_fma_f64 v[66:67], v[11:12], s[6:7], v[52:53]
	;; [unrolled: 1-line block ×3, first 2 shown]
	v_add_f64 v[60:61], v[68:69], v[70:71]
	v_fma_f64 v[68:69], v[76:77], s[18:19], v[54:55]
	v_fma_f64 v[54:55], v[76:77], s[6:7], v[54:55]
	v_add_f64 v[50:51], v[22:23], v[50:51]
	v_fma_f64 v[22:23], v[78:79], s[20:21], v[30:31]
	v_fma_f64 v[30:31], v[78:79], s[12:13], v[32:33]
	v_fma_f64 v[32:33], v[13:14], s[20:21], v[44:45]
	v_fma_f64 v[13:14], v[13:14], s[12:13], v[46:47]
	v_add_f64 v[24:25], v[24:25], v[34:35]
	v_fma_f64 v[34:35], v[76:77], s[12:13], v[66:67]
	v_fma_f64 v[44:45], v[76:77], s[20:21], v[52:53]
	v_add_f64 v[80:81], v[26:27], v[36:37]
	v_fma_f64 v[46:47], v[11:12], s[12:13], v[68:69]
	v_fma_f64 v[11:12], v[11:12], s[20:21], v[54:55]
	;; [unrolled: 1-line block ×5, first 2 shown]
	v_add_f64 v[30:31], v[15:16], -v[26:27]
	v_add_f64 v[32:33], v[40:41], -v[36:37]
	v_fma_f64 v[13:14], v[58:59], s[22:23], v[13:14]
	v_fma_f64 v[58:59], v[60:61], s[22:23], v[34:35]
	;; [unrolled: 1-line block ×3, first 2 shown]
	v_add_f64 v[34:35], v[26:27], -v[15:16]
	v_add_f64 v[44:45], v[36:37], -v[40:41]
	v_add_f64 v[66:67], v[18:19], v[15:16]
	v_add_f64 v[62:63], v[72:73], v[74:75]
	v_fma_f64 v[64:65], v[80:81], -0.5, v[18:19]
	v_add_f64 v[22:23], v[20:21], -v[42:43]
	v_add_f64 v[30:31], v[30:31], v[32:33]
	v_add_f64 v[32:33], v[28:29], v[38:39]
	v_add_f64 v[70:71], v[28:29], -v[38:39]
	v_add_f64 v[34:35], v[34:35], v[44:45]
	v_add_f64 v[66:67], v[66:67], v[26:27]
	;; [unrolled: 1-line block ×3, first 2 shown]
	v_fma_f64 v[46:47], v[62:63], s[22:23], v[46:47]
	v_fma_f64 v[11:12], v[62:63], s[22:23], v[11:12]
	v_add_f64 v[62:63], v[15:16], v[40:41]
	v_fma_f64 v[68:69], v[22:23], s[18:19], v[64:65]
	v_add_f64 v[15:16], v[15:16], -v[40:41]
	v_fma_f64 v[32:33], v[32:33], -0.5, v[9:10]
	v_add_f64 v[66:67], v[66:67], v[36:37]
	v_add_f64 v[26:27], v[26:27], -v[36:37]
	v_fma_f64 v[36:37], v[44:45], -0.5, v[9:10]
	v_add_f64 v[9:10], v[9:10], v[20:21]
	v_fma_f64 v[18:19], v[62:63], -0.5, v[18:19]
	v_fma_f64 v[62:63], v[70:71], s[20:21], v[68:69]
	v_add_f64 v[44:45], v[20:21], -v[28:29]
	v_add_f64 v[68:69], v[42:43], -v[38:39]
	v_fma_f64 v[72:73], v[15:16], s[6:7], v[32:33]
	v_add_f64 v[20:21], v[28:29], -v[20:21]
	v_add_f64 v[74:75], v[38:39], -v[42:43]
	v_fma_f64 v[78:79], v[26:27], s[18:19], v[36:37]
	v_fma_f64 v[64:65], v[22:23], s[6:7], v[64:65]
	v_fma_f64 v[76:77], v[70:71], s[6:7], v[18:19]
	v_fma_f64 v[18:19], v[70:71], s[18:19], v[18:19]
	v_add_f64 v[9:10], v[9:10], v[28:29]
	v_add_f64 v[28:29], v[44:45], v[68:69]
	v_fma_f64 v[44:45], v[26:27], s[12:13], v[72:73]
	v_add_f64 v[40:41], v[66:67], v[40:41]
	v_add_f64 v[20:21], v[20:21], v[74:75]
	v_fma_f64 v[32:33], v[15:16], s[18:19], v[32:33]
	v_fma_f64 v[66:67], v[15:16], s[12:13], v[78:79]
	;; [unrolled: 1-line block ×7, first 2 shown]
	v_add_f64 v[9:10], v[9:10], v[38:39]
	v_fma_f64 v[26:27], v[26:27], s[20:21], v[32:33]
	v_fma_f64 v[32:33], v[20:21], s[22:23], v[66:67]
	;; [unrolled: 1-line block ×7, first 2 shown]
	v_mul_f64 v[18:19], v[22:23], s[20:21]
	v_fma_f64 v[26:27], v[28:29], s[22:23], v[26:27]
	v_mul_f64 v[28:29], v[32:33], s[18:19]
	v_fma_f64 v[15:16], v[20:21], s[22:23], v[15:16]
	v_add_f64 v[9:10], v[9:10], v[42:43]
	v_mul_f64 v[44:45], v[30:31], s[30:31]
	v_mul_f64 v[20:21], v[34:35], s[22:23]
	v_fma_f64 v[42:43], v[38:39], s[30:31], v[18:19]
	v_mul_f64 v[38:39], v[38:39], s[12:13]
	v_fma_f64 v[62:63], v[36:37], s[22:23], v[28:29]
	v_mul_f64 v[28:29], v[36:37], s[6:7]
	v_mul_f64 v[36:37], v[15:16], s[22:23]
	;; [unrolled: 1-line block ×3, first 2 shown]
	v_fma_f64 v[66:67], v[26:27], s[20:21], -v[44:45]
	v_fma_f64 v[15:16], v[15:16], s[18:19], -v[20:21]
	v_add_f64 v[18:19], v[50:51], v[40:41]
	v_fma_f64 v[44:45], v[22:23], s[30:31], v[38:39]
	v_add_f64 v[20:21], v[24:25], v[9:10]
	v_fma_f64 v[68:69], v[32:33], s[22:23], v[28:29]
	v_fma_f64 v[70:71], v[34:35], s[6:7], -v[36:37]
	v_fma_f64 v[64:65], v[30:31], s[12:13], -v[64:65]
	v_add_f64 v[22:23], v[52:53], v[42:43]
	v_add_f64 v[32:33], v[24:25], -v[9:10]
	v_add_f64 v[26:27], v[56:57], v[62:63]
	v_add_f64 v[24:25], v[58:59], v[44:45]
	;; [unrolled: 1-line block ×4, first 2 shown]
	v_add_f64 v[38:39], v[52:53], -v[42:43]
	v_add_f64 v[36:37], v[11:12], v[70:71]
	v_add_f64 v[52:53], v[46:47], -v[68:69]
	v_lshrrev_b32_e32 v46, 2, v97
	v_add_f64 v[30:31], v[50:51], -v[40:41]
	v_add_f64 v[40:41], v[58:59], -v[44:45]
	v_add_f64 v[42:43], v[54:55], v[66:67]
	v_add_f64 v[44:45], v[60:61], v[64:65]
	v_mul_u32_u24_e32 v46, 40, v46
	v_or_b32_e32 v0, v46, v0
	v_mul_u32_u24_e32 v0, 0xc0, v0
	v_add_f64 v[50:51], v[56:57], -v[62:63]
	v_add3_u32 v0, 0, v0, v17
	v_add_f64 v[9:10], v[13:14], -v[15:16]
	v_add_f64 v[13:14], v[54:55], -v[66:67]
	;; [unrolled: 1-line block ×4, first 2 shown]
	ds_write_b128 v0, v[18:21]
	ds_write_b128 v0, v[22:25] offset:768
	ds_write_b128 v0, v[26:29] offset:1536
	;; [unrolled: 1-line block ×9, first 2 shown]
	s_waitcnt lgkmcnt(0)
	s_barrier
	ds_read_b128 v[21:24], v49
	ds_read_b128 v[45:48], v49 offset:7680
	ds_read_b128 v[41:44], v49 offset:15360
	;; [unrolled: 1-line block ×5, first 2 shown]
	ds_read_b128 v[17:20], v92
	ds_read_b128 v[25:28], v49 offset:26112
	s_and_saveexec_b64 s[6:7], s[2:3]
	s_cbranch_execz .LBB0_28
; %bb.27:
	v_add_u32_e32 v0, 0x1800, v49
	ds_read_b128 v[13:16], v49 offset:13824
	ds_read_b128 v[1:4], v49 offset:21504
	ds_read_b128 v[9:12], v0
	ds_read_b128 v[5:8], v49 offset:29184
.LBB0_28:
	s_or_b64 exec, exec, s[6:7]
	v_mul_u32_u24_e32 v0, 3, v97
	v_lshlrev_b32_e32 v0, 4, v0
	global_load_dwordx4 v[49:52], v0, s[26:27] offset:576
	global_load_dwordx4 v[53:56], v0, s[26:27] offset:592
	;; [unrolled: 1-line block ×3, first 2 shown]
	v_mul_lo_u32 v0, v93, v97
	v_mov_b32_e32 v61, 4
	v_mov_b32_e32 v62, 0x1000
	v_add_u32_e32 v102, 0x50, v97
	v_lshlrev_b32_sdwa v71, v61, v0 dst_sel:DWORD dst_unused:UNUSED_PAD src0_sel:DWORD src1_sel:BYTE_0
	v_bfe_u32 v0, v0, 8, 8
	v_lshl_or_b32 v0, v0, 4, v62
	global_load_dwordx4 v[63:66], v71, s[16:17]
	global_load_dwordx4 v[67:70], v0, s[16:17]
	v_mul_lo_u32 v0, v93, v98
	s_movk_i32 s6, 0xcd
	v_add_u32_e32 v103, 0x78, v97
	s_mul_i32 s5, s5, s28
	v_lshlrev_b32_sdwa v79, v61, v0 dst_sel:DWORD dst_unused:UNUSED_PAD src0_sel:DWORD src1_sel:BYTE_0
	v_bfe_u32 v0, v0, 8, 8
	v_lshl_or_b32 v0, v0, 4, v62
	global_load_dwordx4 v[71:74], v79, s[16:17]
	global_load_dwordx4 v[75:78], v0, s[16:17]
	v_mul_lo_u32 v0, v93, v102
	v_lshlrev_b32_sdwa v87, v61, v0 dst_sel:DWORD dst_unused:UNUSED_PAD src0_sel:DWORD src1_sel:BYTE_0
	v_bfe_u32 v0, v0, 8, 8
	v_lshl_or_b32 v0, v0, 4, v62
	global_load_dwordx4 v[79:82], v87, s[16:17]
	global_load_dwordx4 v[83:86], v0, s[16:17]
	v_mul_lo_u16_sdwa v0, v100, s6 dst_sel:DWORD dst_unused:UNUSED_PAD src0_sel:BYTE_0 src1_sel:DWORD
	v_lshrrev_b16_e32 v0, 13, v0
	s_mul_hi_u32 s6, s4, s28
	s_add_i32 s6, s6, s5
	s_mul_i32 s4, s4, s28
	s_add_u32 s4, s4, s48
	s_addc_u32 s5, s6, s33
	s_movk_i32 s6, 0x78
	s_andn2_b64 vcc, exec, s[0:1]
	s_waitcnt vmcnt(8) lgkmcnt(6)
	v_mul_f64 v[87:88], v[47:48], v[51:52]
	v_mul_f64 v[51:52], v[45:46], v[51:52]
	v_fma_f64 v[87:88], v[45:46], v[49:50], -v[87:88]
	v_fma_f64 v[89:90], v[47:48], v[49:50], v[51:52]
	s_waitcnt vmcnt(7) lgkmcnt(5)
	v_mul_f64 v[45:46], v[43:44], v[55:56]
	v_mul_f64 v[47:48], v[41:42], v[55:56]
	v_mul_lo_u16_e32 v49, 40, v0
	v_sub_u16_e32 v49, v100, v49
	v_and_b32_e32 v101, 0xff, v49
	v_mul_u32_u24_e32 v49, 3, v101
	v_lshlrev_b32_e32 v104, 4, v49
	v_fma_f64 v[91:92], v[41:42], v[53:54], -v[45:46]
	v_fma_f64 v[95:96], v[43:44], v[53:54], v[47:48]
	s_waitcnt vmcnt(6) lgkmcnt(3)
	v_mul_f64 v[45:46], v[39:40], v[59:60]
	v_mul_f64 v[47:48], v[37:38], v[59:60]
	global_load_dwordx4 v[41:44], v104, s[26:27] offset:576
	s_waitcnt vmcnt(3)
	v_mul_f64 v[51:52], v[71:72], v[77:78]
	s_waitcnt vmcnt(1)
	v_mul_f64 v[53:54], v[81:82], v[85:86]
	v_mul_f64 v[55:56], v[79:80], v[85:86]
	v_fma_f64 v[59:60], v[37:38], v[57:58], -v[45:46]
	v_fma_f64 v[57:58], v[39:40], v[57:58], v[47:48]
	v_mul_f64 v[37:38], v[65:66], v[69:70]
	v_mul_f64 v[39:40], v[63:64], v[69:70]
	v_mul_lo_u32 v45, v93, v103
	v_fma_f64 v[69:70], v[73:74], v[75:76], v[51:52]
	v_lshlrev_b32_sdwa v49, v61, v45 dst_sel:DWORD dst_unused:UNUSED_PAD src0_sel:DWORD src1_sel:BYTE_0
	v_bfe_u32 v45, v45, 8, 8
	v_lshl_or_b32 v50, v45, 4, v62
	v_fma_f64 v[63:64], v[63:64], v[67:68], -v[37:38]
	v_fma_f64 v[65:66], v[65:66], v[67:68], v[39:40]
	global_load_dwordx4 v[37:40], v49, s[16:17]
	global_load_dwordx4 v[45:48], v50, s[16:17]
	v_mul_f64 v[49:50], v[73:74], v[77:78]
	v_fma_f64 v[73:74], v[81:82], v[83:84], v[55:56]
	v_mul_lo_u32 v77, v93, v101
	v_add_u32_e32 v78, 40, v101
	v_mul_lo_u32 v78, v93, v78
	v_add_f64 v[57:58], v[89:90], -v[57:58]
	v_add_f64 v[81:82], v[21:22], -v[91:92]
	;; [unrolled: 1-line block ×3, first 2 shown]
	v_fma_f64 v[67:68], v[71:72], v[75:76], -v[49:50]
	global_load_dwordx4 v[49:52], v104, s[26:27] offset:592
	v_fma_f64 v[71:72], v[79:80], v[83:84], -v[53:54]
	global_load_dwordx4 v[53:56], v104, s[26:27] offset:608
	v_lshlrev_b32_sdwa v79, v61, v77 dst_sel:DWORD dst_unused:UNUSED_PAD src0_sel:DWORD src1_sel:BYTE_0
	v_add_f64 v[83:84], v[23:24], -v[95:96]
	v_fma_f64 v[21:22], v[21:22], 2.0, -v[81:82]
	v_fma_f64 v[23:24], v[23:24], 2.0, -v[83:84]
	s_waitcnt vmcnt(2)
	v_mul_f64 v[75:76], v[39:40], v[47:48]
	v_mul_f64 v[47:48], v[37:38], v[47:48]
	v_fma_f64 v[75:76], v[37:38], v[45:46], -v[75:76]
	v_mul_f64 v[37:38], v[35:36], v[43:44]
	v_fma_f64 v[45:46], v[39:40], v[45:46], v[47:48]
	v_mul_f64 v[39:40], v[33:34], v[43:44]
	s_waitcnt vmcnt(1) lgkmcnt(2)
	v_mul_f64 v[43:44], v[31:32], v[51:52]
	v_mul_f64 v[51:52], v[29:30], v[51:52]
	v_fma_f64 v[47:48], v[33:34], v[41:42], -v[37:38]
	v_bfe_u32 v33, v77, 8, 8
	v_fma_f64 v[41:42], v[35:36], v[41:42], v[39:40]
	v_lshl_or_b32 v77, v33, 4, v62
	global_load_dwordx4 v[33:36], v79, s[16:17]
	global_load_dwordx4 v[37:40], v77, s[16:17]
	v_fma_f64 v[43:44], v[29:30], v[49:50], -v[43:44]
	v_fma_f64 v[49:50], v[31:32], v[49:50], v[51:52]
	s_waitcnt vmcnt(2) lgkmcnt(0)
	v_mul_f64 v[29:30], v[27:28], v[55:56]
	v_mul_f64 v[31:32], v[25:26], v[55:56]
	v_lshlrev_b32_sdwa v55, v61, v78 dst_sel:DWORD dst_unused:UNUSED_PAD src0_sel:DWORD src1_sel:BYTE_0
	v_bfe_u32 v51, v78, 8, 8
	v_lshl_or_b32 v56, v51, 4, v62
	v_add_u32_e32 v77, 0x78, v101
	v_mul_lo_u32 v77, v93, v77
	v_fma_f64 v[79:80], v[87:88], 2.0, -v[59:60]
	v_fma_f64 v[51:52], v[25:26], v[53:54], -v[29:30]
	v_fma_f64 v[53:54], v[27:28], v[53:54], v[31:32]
	global_load_dwordx4 v[25:28], v55, s[16:17]
	global_load_dwordx4 v[29:32], v56, s[16:17]
	v_lshlrev_b32_sdwa v78, v61, v77 dst_sel:DWORD dst_unused:UNUSED_PAD src0_sel:DWORD src1_sel:BYTE_0
	v_add_f64 v[59:60], v[83:84], v[59:60]
	v_add_f64 v[49:50], v[19:20], -v[49:50]
	v_add_f64 v[43:44], v[17:18], -v[43:44]
	;; [unrolled: 1-line block ×5, first 2 shown]
	v_fma_f64 v[21:22], v[21:22], 2.0, -v[85:86]
	v_fma_f64 v[47:48], v[47:48], 2.0, -v[51:52]
	;; [unrolled: 1-line block ×3, first 2 shown]
	v_add_f64 v[53:54], v[43:44], -v[53:54]
	s_waitcnt vmcnt(2)
	v_mul_f64 v[55:56], v[35:36], v[39:40]
	v_mul_f64 v[39:40], v[33:34], v[39:40]
	v_fma_f64 v[33:34], v[33:34], v[37:38], -v[55:56]
	v_fma_f64 v[35:36], v[35:36], v[37:38], v[39:40]
	v_add_u32_e32 v39, 0x50, v101
	v_mul_lo_u32 v55, v93, v39
	v_or_b32_e32 v101, 32, v97
	s_waitcnt vmcnt(0)
	v_mul_f64 v[37:38], v[27:28], v[31:32]
	v_mul_f64 v[31:32], v[25:26], v[31:32]
	v_lshlrev_b32_sdwa v56, v61, v55 dst_sel:DWORD dst_unused:UNUSED_PAD src0_sel:DWORD src1_sel:BYTE_0
	v_fma_f64 v[37:38], v[25:26], v[29:30], -v[37:38]
	v_bfe_u32 v25, v55, 8, 8
	v_fma_f64 v[39:40], v[27:28], v[29:30], v[31:32]
	v_lshl_or_b32 v55, v25, 4, v62
	global_load_dwordx4 v[25:28], v56, s[16:17]
	global_load_dwordx4 v[29:32], v55, s[16:17]
	s_waitcnt vmcnt(0)
	v_mul_f64 v[55:56], v[27:28], v[31:32]
	v_mul_f64 v[31:32], v[25:26], v[31:32]
	v_fma_f64 v[55:56], v[25:26], v[29:30], -v[55:56]
	v_bfe_u32 v25, v77, 8, 8
	v_fma_f64 v[104:105], v[27:28], v[29:30], v[31:32]
	v_lshl_or_b32 v77, v25, 4, v62
	global_load_dwordx4 v[25:28], v78, s[16:17]
	global_load_dwordx4 v[29:32], v77, s[16:17]
	v_fma_f64 v[77:78], v[89:90], 2.0, -v[57:58]
	v_add_f64 v[57:58], v[81:82], -v[57:58]
	v_fma_f64 v[89:90], v[19:20], 2.0, -v[49:50]
	v_add_f64 v[87:88], v[23:24], -v[77:78]
	v_add_f64 v[41:42], v[89:90], -v[41:42]
	v_fma_f64 v[23:24], v[23:24], 2.0, -v[87:88]
	v_mul_f64 v[77:78], v[23:24], v[65:66]
	v_mul_f64 v[65:66], v[21:22], v[65:66]
	v_fma_f64 v[77:78], v[21:22], v[63:64], -v[77:78]
	v_mul_lo_u16_e32 v21, 13, v101
	v_fma_f64 v[79:80], v[23:24], v[63:64], v[65:66]
	v_lshrrev_b16_e32 v63, 9, v21
	v_fma_f64 v[21:22], v[83:84], 2.0, -v[59:60]
	v_fma_f64 v[23:24], v[81:82], 2.0, -v[57:58]
	v_mul_lo_u16_e32 v63, 40, v63
	v_sub_u16_e32 v81, v101, v63
	v_and_b32_e32 v95, 0xff, v81
	v_mul_f64 v[63:64], v[21:22], v[69:70]
	v_mul_f64 v[65:66], v[23:24], v[69:70]
	v_fma_f64 v[69:70], v[17:18], 2.0, -v[43:44]
	v_fma_f64 v[43:44], v[43:44], 2.0, -v[53:54]
	v_mul_u32_u24_e32 v17, 3, v95
	v_fma_f64 v[81:82], v[23:24], v[67:68], -v[63:64]
	v_fma_f64 v[83:84], v[21:22], v[67:68], v[65:66]
	v_mul_f64 v[21:22], v[87:88], v[73:74]
	v_mul_f64 v[23:24], v[85:86], v[73:74]
	v_add_f64 v[47:48], v[69:70], -v[47:48]
	v_add_f64 v[63:64], v[49:50], v[51:52]
	v_fma_f64 v[51:52], v[89:90], 2.0, -v[41:42]
	v_lshlrev_b32_e32 v73, 4, v17
	global_load_dwordx4 v[17:20], v73, s[26:27] offset:608
	v_fma_f64 v[85:86], v[85:86], v[71:72], -v[21:22]
	v_fma_f64 v[87:88], v[87:88], v[71:72], v[23:24]
	v_fma_f64 v[65:66], v[49:50], 2.0, -v[63:64]
	v_mul_f64 v[49:50], v[59:60], v[45:46]
	v_mul_f64 v[45:46], v[57:58], v[45:46]
	s_waitcnt vmcnt(1)
	v_mul_f64 v[21:22], v[27:28], v[31:32]
	v_mul_f64 v[23:24], v[25:26], v[31:32]
	v_fma_f64 v[31:32], v[69:70], 2.0, -v[47:48]
	v_mul_f64 v[69:70], v[51:52], v[35:36]
	v_fma_f64 v[67:68], v[25:26], v[29:30], -v[21:22]
	v_fma_f64 v[29:30], v[27:28], v[29:30], v[23:24]
	global_load_dwordx4 v[21:24], v73, s[26:27] offset:592
	global_load_dwordx4 v[25:28], v73, s[26:27] offset:576
	v_fma_f64 v[73:74], v[57:58], v[75:76], -v[49:50]
	v_fma_f64 v[75:76], v[59:60], v[75:76], v[45:46]
	v_mul_f64 v[35:36], v[31:32], v[35:36]
	v_mul_f64 v[45:46], v[65:66], v[39:40]
	;; [unrolled: 1-line block ×6, first 2 shown]
	v_fma_f64 v[69:70], v[31:32], v[33:34], -v[69:70]
	v_mul_f64 v[31:32], v[47:48], v[104:105]
	v_fma_f64 v[71:72], v[51:52], v[33:34], v[35:36]
	v_mul_lo_u32 v33, v93, v95
	v_fma_f64 v[49:50], v[43:44], v[37:38], -v[45:46]
	v_fma_f64 v[51:52], v[65:66], v[37:38], v[39:40]
	v_fma_f64 v[45:46], v[47:48], v[55:56], -v[57:58]
	v_fma_f64 v[91:92], v[63:64], v[67:68], v[29:30]
	v_add_u32_e32 v30, 40, v95
	v_mul_lo_u32 v38, v93, v30
	v_lshlrev_b32_sdwa v37, v61, v33 dst_sel:DWORD dst_unused:UNUSED_PAD src0_sel:DWORD src1_sel:BYTE_0
	v_bfe_u32 v29, v33, 8, 8
	v_fma_f64 v[47:48], v[41:42], v[55:56], v[31:32]
	v_fma_f64 v[89:90], v[53:54], v[67:68], -v[59:60]
	v_lshl_or_b32 v39, v29, 4, v62
	global_load_dwordx4 v[29:32], v37, s[16:17]
	global_load_dwordx4 v[33:36], v39, s[16:17]
	v_lshlrev_b32_sdwa v53, v61, v38 dst_sel:DWORD dst_unused:UNUSED_PAD src0_sel:DWORD src1_sel:BYTE_0
	v_bfe_u32 v37, v38, 8, 8
	v_add_u32_e32 v38, 0x50, v95
	v_mul_lo_u32 v54, v93, v38
	v_lshl_or_b32 v55, v37, 4, v62
	global_load_dwordx4 v[37:40], v53, s[16:17]
	global_load_dwordx4 v[41:44], v55, s[16:17]
	v_lshlrev_b32_sdwa v63, v61, v54 dst_sel:DWORD dst_unused:UNUSED_PAD src0_sel:DWORD src1_sel:BYTE_0
	v_bfe_u32 v53, v54, 8, 8
	v_add_u32_e32 v54, 0x78, v95
	v_mul_lo_u32 v64, v93, v54
	v_lshl_or_b32 v65, v53, 4, v62
	global_load_dwordx4 v[53:56], v63, s[16:17]
	global_load_dwordx4 v[57:60], v65, s[16:17]
	v_lshlrev_b32_sdwa v95, v61, v64 dst_sel:DWORD dst_unused:UNUSED_PAD src0_sel:DWORD src1_sel:BYTE_0
	v_bfe_u32 v61, v64, 8, 8
	v_lshl_or_b32 v96, v61, 4, v62
	global_load_dwordx4 v[61:64], v95, s[16:17]
	global_load_dwordx4 v[65:68], v96, s[16:17]
	s_cbranch_vccnz .LBB0_30
; %bb.29:
	v_mad_u64_u32 v[95:96], s[0:1], s10, v99, 0
	v_mad_u64_u32 v[104:105], s[0:1], s8, v97, 0
	;; [unrolled: 1-line block ×3, first 2 shown]
	v_mov_b32_e32 v96, v105
	v_mad_u64_u32 v[107:108], s[0:1], s9, v97, v[96:97]
	s_lshl_b64 s[0:1], s[4:5], 4
	s_add_u32 s7, s14, s0
	s_addc_u32 s0, s15, s1
	v_mov_b32_e32 v96, v106
	v_mov_b32_e32 v105, v107
	;; [unrolled: 1-line block ×3, first 2 shown]
	v_mad_u64_u32 v[106:107], s[0:1], s8, v98, 0
	v_lshlrev_b64 v[95:96], 4, v[95:96]
	v_lshlrev_b64 v[104:105], 4, v[104:105]
	v_add_co_u32_e32 v95, vcc, s7, v95
	v_addc_co_u32_e32 v96, vcc, v108, v96, vcc
	v_mad_u64_u32 v[107:108], s[0:1], s9, v98, v[107:108]
	v_add_co_u32_e32 v104, vcc, v95, v104
	v_addc_co_u32_e32 v105, vcc, v96, v105, vcc
	global_store_dwordx4 v[104:105], v[77:80], off
	v_lshlrev_b64 v[104:105], 4, v[106:107]
	v_mad_u64_u32 v[106:107], s[0:1], s8, v102, 0
	v_add_co_u32_e32 v104, vcc, v95, v104
	v_mad_u64_u32 v[107:108], s[0:1], s9, v102, v[107:108]
	v_mad_u64_u32 v[108:109], s[0:1], s8, v103, 0
	v_addc_co_u32_e32 v105, vcc, v96, v105, vcc
	v_mov_b32_e32 v102, v109
	v_mad_u64_u32 v[102:103], s[0:1], s9, v103, v[102:103]
	global_store_dwordx4 v[104:105], v[81:84], off
	v_lshlrev_b64 v[104:105], 4, v[106:107]
	v_mov_b32_e32 v109, v102
	v_add_co_u32_e32 v103, vcc, v95, v104
	v_addc_co_u32_e32 v104, vcc, v96, v105, vcc
	global_store_dwordx4 v[103:104], v[85:88], off
	v_lshlrev_b64 v[102:103], 4, v[108:109]
	v_mad_u32_u24 v108, v0, s6, v100
	v_mad_u64_u32 v[104:105], s[0:1], s8, v108, 0
	v_add_u32_e32 v109, 40, v108
	v_add_co_u32_e32 v102, vcc, v95, v102
	v_mad_u64_u32 v[105:106], s[0:1], s9, v108, v[105:106]
	v_mad_u64_u32 v[106:107], s[0:1], s8, v109, 0
	v_addc_co_u32_e32 v103, vcc, v96, v103, vcc
	global_store_dwordx4 v[102:103], v[73:76], off
	v_lshlrev_b64 v[102:103], 4, v[104:105]
	v_mov_b32_e32 v104, v107
	v_mad_u64_u32 v[104:105], s[0:1], s9, v109, v[104:105]
	v_add_co_u32_e32 v102, vcc, v95, v102
	v_addc_co_u32_e32 v103, vcc, v96, v103, vcc
	v_mov_b32_e32 v107, v104
	global_store_dwordx4 v[102:103], v[69:72], off
	v_lshlrev_b64 v[102:103], 4, v[106:107]
	v_add_u32_e32 v106, 0x50, v108
	v_mad_u64_u32 v[104:105], s[0:1], s8, v106, 0
	v_add_u32_e32 v108, 0x78, v108
	v_add_co_u32_e32 v102, vcc, v95, v102
	v_mad_u64_u32 v[105:106], s[0:1], s9, v106, v[105:106]
	v_mad_u64_u32 v[106:107], s[0:1], s8, v108, 0
	v_addc_co_u32_e32 v103, vcc, v96, v103, vcc
	global_store_dwordx4 v[102:103], v[49:52], off
	v_lshlrev_b64 v[102:103], 4, v[104:105]
	v_mov_b32_e32 v104, v107
	v_mad_u64_u32 v[104:105], s[0:1], s9, v108, v[104:105]
	v_add_co_u32_e32 v102, vcc, v95, v102
	v_addc_co_u32_e32 v103, vcc, v96, v103, vcc
	v_mov_b32_e32 v107, v104
	global_store_dwordx4 v[102:103], v[45:48], off
	v_lshlrev_b64 v[102:103], 4, v[106:107]
	v_add_co_u32_e32 v102, vcc, v95, v102
	v_addc_co_u32_e32 v103, vcc, v96, v103, vcc
	s_and_b64 s[0:1], s[2:3], exec
	global_store_dwordx4 v[102:103], v[89:92], off
	s_cbranch_execz .LBB0_31
	s_branch .LBB0_34
.LBB0_30:
	s_mov_b64 s[0:1], 0
                                        ; implicit-def: $vgpr95_vgpr96
.LBB0_31:
	v_cmp_gt_u64_e32 vcc, s[24:25], v[93:94]
                                        ; implicit-def: $vgpr95_vgpr96
	s_and_saveexec_b64 s[6:7], vcc
	s_cbranch_execz .LBB0_33
; %bb.32:
	v_mad_u64_u32 v[93:94], s[12:13], s10, v99, 0
	v_mad_u64_u32 v[102:103], s[12:13], s8, v97, 0
	;; [unrolled: 1-line block ×3, first 2 shown]
	v_mov_b32_e32 v95, v103
	v_mad_u64_u32 v[95:96], s[10:11], s9, v97, v[95:96]
	s_lshl_b64 s[4:5], s[4:5], 4
	s_add_u32 s10, s14, s4
	v_lshlrev_b64 v[93:94], 4, v[93:94]
	s_addc_u32 s4, s15, s5
	v_mov_b32_e32 v103, v95
	v_mov_b32_e32 v96, s4
	v_add_co_u32_e32 v95, vcc, s10, v93
	v_addc_co_u32_e32 v96, vcc, v96, v94, vcc
	v_lshlrev_b64 v[93:94], 4, v[102:103]
	v_mad_u64_u32 v[104:105], s[4:5], s8, v98, 0
	v_add_co_u32_e32 v93, vcc, v95, v93
	v_addc_co_u32_e32 v94, vcc, v96, v94, vcc
	global_store_dwordx4 v[93:94], v[77:80], off
	v_add_u32_e32 v93, 0x50, v97
	v_mov_b32_e32 v99, v105
	v_mad_u64_u32 v[79:80], s[4:5], s8, v93, 0
	v_mad_u64_u32 v[98:99], s[4:5], s9, v98, v[99:100]
	;; [unrolled: 1-line block ×3, first 2 shown]
	v_mov_b32_e32 v105, v98
	v_add_u32_e32 v94, 0x78, v97
	v_lshlrev_b64 v[77:78], 4, v[104:105]
	v_mad_u64_u32 v[98:99], s[4:5], s8, v94, 0
	v_add_co_u32_e32 v77, vcc, v95, v77
	v_addc_co_u32_e32 v78, vcc, v96, v78, vcc
	v_mov_b32_e32 v80, v93
	global_store_dwordx4 v[77:78], v[81:84], off
	v_lshlrev_b64 v[77:78], 4, v[79:80]
	v_mov_b32_e32 v79, v99
	v_mad_u64_u32 v[79:80], s[4:5], s9, v94, v[79:80]
	s_movk_i32 s4, 0x78
	v_mad_u32_u24 v83, v0, s4, v100
	v_mov_b32_e32 v99, v79
	v_mad_u64_u32 v[79:80], s[4:5], s8, v83, 0
	v_add_co_u32_e32 v77, vcc, v95, v77
	v_addc_co_u32_e32 v78, vcc, v96, v78, vcc
	v_mov_b32_e32 v0, v80
	global_store_dwordx4 v[77:78], v[85:88], off
	v_lshlrev_b64 v[77:78], 4, v[98:99]
	v_mad_u64_u32 v[80:81], s[4:5], s9, v83, v[0:1]
	v_add_co_u32_e32 v77, vcc, v95, v77
	v_addc_co_u32_e32 v78, vcc, v96, v78, vcc
	v_add_u32_e32 v84, 40, v83
	global_store_dwordx4 v[77:78], v[73:76], off
	v_mad_u64_u32 v[81:82], s[4:5], s8, v84, 0
	v_lshlrev_b64 v[73:74], 4, v[79:80]
	s_andn2_b64 s[0:1], s[0:1], exec
	v_add_co_u32_e32 v73, vcc, v95, v73
	v_addc_co_u32_e32 v74, vcc, v96, v74, vcc
	global_store_dwordx4 v[73:74], v[69:72], off
	v_add_u32_e32 v73, 0x50, v83
	v_mov_b32_e32 v0, v82
	v_mad_u64_u32 v[71:72], s[4:5], s8, v73, 0
	v_mad_u64_u32 v[75:76], s[4:5], s9, v84, v[0:1]
	v_mov_b32_e32 v0, v72
	v_mad_u64_u32 v[72:73], s[4:5], s9, v73, v[0:1]
	v_mov_b32_e32 v82, v75
	v_add_u32_e32 v75, 0x78, v83
	v_mad_u64_u32 v[73:74], s[4:5], s8, v75, 0
	v_lshlrev_b64 v[69:70], 4, v[81:82]
	s_and_b64 s[2:3], s[2:3], exec
	v_add_co_u32_e32 v69, vcc, v95, v69
	v_addc_co_u32_e32 v70, vcc, v96, v70, vcc
	v_mov_b32_e32 v0, v74
	global_store_dwordx4 v[69:70], v[49:52], off
	s_or_b64 s[0:1], s[0:1], s[2:3]
	v_mad_u64_u32 v[51:52], s[4:5], s9, v75, v[0:1]
	v_lshlrev_b64 v[49:50], 4, v[71:72]
	v_add_co_u32_e32 v49, vcc, v95, v49
	v_addc_co_u32_e32 v50, vcc, v96, v50, vcc
	v_mov_b32_e32 v74, v51
	global_store_dwordx4 v[49:50], v[45:48], off
	s_nop 0
	v_lshlrev_b64 v[45:46], 4, v[73:74]
	v_add_co_u32_e32 v45, vcc, v95, v45
	v_addc_co_u32_e32 v46, vcc, v96, v46, vcc
	global_store_dwordx4 v[45:46], v[89:92], off
.LBB0_33:
	s_or_b64 exec, exec, s[6:7]
.LBB0_34:
	s_and_saveexec_b64 s[2:3], s[0:1]
	s_cbranch_execnz .LBB0_36
; %bb.35:
	s_endpgm
.LBB0_36:
	s_waitcnt vmcnt(8)
	v_mul_f64 v[45:46], v[15:16], v[27:28]
	v_mul_f64 v[27:28], v[13:14], v[27:28]
	;; [unrolled: 1-line block ×6, first 2 shown]
	v_fma_f64 v[13:14], v[13:14], v[25:26], -v[45:46]
	v_fma_f64 v[15:16], v[15:16], v[25:26], v[27:28]
	v_fma_f64 v[0:1], v[1:2], v[21:22], -v[47:48]
	v_fma_f64 v[2:3], v[3:4], v[21:22], v[23:24]
	v_fma_f64 v[7:8], v[7:8], v[17:18], v[49:50]
	v_fma_f64 v[4:5], v[5:6], v[17:18], -v[19:20]
	s_waitcnt vmcnt(6)
	v_mul_f64 v[17:18], v[31:32], v[35:36]
	v_mul_f64 v[19:20], v[29:30], v[35:36]
	s_waitcnt vmcnt(4)
	v_mul_f64 v[21:22], v[39:40], v[43:44]
	v_mul_f64 v[23:24], v[37:38], v[43:44]
	v_add_f64 v[0:1], v[9:10], -v[0:1]
	v_add_f64 v[2:3], v[11:12], -v[2:3]
	;; [unrolled: 1-line block ×4, first 2 shown]
	s_waitcnt vmcnt(2)
	v_mul_f64 v[27:28], v[53:54], v[59:60]
	v_mul_f64 v[25:26], v[55:56], v[59:60]
	s_waitcnt vmcnt(0)
	v_mul_f64 v[35:36], v[63:64], v[67:68]
	v_fma_f64 v[8:9], v[9:10], 2.0, -v[0:1]
	v_fma_f64 v[10:11], v[11:12], 2.0, -v[2:3]
	;; [unrolled: 1-line block ×4, first 2 shown]
	v_add_f64 v[45:46], v[0:1], -v[6:7]
	v_add_f64 v[43:44], v[2:3], v[4:5]
	v_mul_f64 v[4:5], v[61:62], v[67:68]
	v_fma_f64 v[25:26], v[53:54], v[57:58], -v[25:26]
	v_add_f64 v[6:7], v[10:11], -v[15:16]
	v_add_f64 v[12:13], v[8:9], -v[12:13]
	v_fma_f64 v[14:15], v[29:30], v[33:34], -v[17:18]
	v_fma_f64 v[16:17], v[31:32], v[33:34], v[19:20]
	v_fma_f64 v[18:19], v[39:40], v[41:42], v[23:24]
	v_fma_f64 v[2:3], v[2:3], 2.0, -v[43:44]
	v_fma_f64 v[0:1], v[0:1], 2.0, -v[45:46]
	v_fma_f64 v[23:24], v[55:56], v[57:58], v[27:28]
	v_fma_f64 v[10:11], v[10:11], 2.0, -v[6:7]
	v_fma_f64 v[8:9], v[8:9], 2.0, -v[12:13]
	v_fma_f64 v[27:28], v[63:64], v[65:66], v[4:5]
	v_fma_f64 v[20:21], v[37:38], v[41:42], -v[21:22]
	v_fma_f64 v[33:34], v[61:62], v[65:66], -v[35:36]
	v_mul_f64 v[4:5], v[2:3], v[18:19]
	v_mul_f64 v[18:19], v[0:1], v[18:19]
	;; [unrolled: 1-line block ×7, first 2 shown]
	v_fma_f64 v[0:1], v[0:1], v[20:21], -v[4:5]
	v_fma_f64 v[2:3], v[2:3], v[20:21], v[18:19]
	v_add_u32_e32 v20, 0x48, v97
	v_fma_f64 v[8:9], v[8:9], v[14:15], -v[31:32]
	v_fma_f64 v[10:11], v[10:11], v[14:15], v[16:17]
	v_mad_u64_u32 v[16:17], s[0:1], s8, v101, 0
	v_fma_f64 v[4:5], v[12:13], v[25:26], -v[29:30]
	v_fma_f64 v[12:13], v[45:46], v[33:34], -v[35:36]
	v_mad_u64_u32 v[17:18], s[0:1], s9, v101, v[17:18]
	v_mad_u64_u32 v[18:19], s[0:1], s8, v20, 0
	v_lshlrev_b64 v[16:17], 4, v[16:17]
	v_mul_f64 v[14:15], v[45:46], v[27:28]
	v_add_co_u32_e32 v16, vcc, v95, v16
	v_addc_co_u32_e32 v17, vcc, v96, v17, vcc
	global_store_dwordx4 v[16:17], v[8:11], off
	v_or_b32_e32 v16, 0x70, v97
	v_mad_u64_u32 v[19:20], s[0:1], s9, v20, v[19:20]
	v_mad_u64_u32 v[10:11], s[0:1], s8, v16, 0
	v_lshlrev_b64 v[8:9], 4, v[18:19]
	v_add_u32_e32 v19, 0x98, v97
	v_mad_u64_u32 v[16:17], s[0:1], s9, v16, v[11:12]
	v_mad_u64_u32 v[17:18], s[0:1], s8, v19, 0
	v_fma_f64 v[6:7], v[6:7], v[25:26], v[22:23]
	v_add_co_u32_e32 v8, vcc, v95, v8
	v_addc_co_u32_e32 v9, vcc, v96, v9, vcc
	global_store_dwordx4 v[8:9], v[0:3], off
	v_mov_b32_e32 v11, v16
	v_mov_b32_e32 v2, v18
	v_mad_u64_u32 v[2:3], s[0:1], s9, v19, v[2:3]
	v_fma_f64 v[14:15], v[43:44], v[33:34], v[14:15]
	v_lshlrev_b64 v[0:1], 4, v[10:11]
	v_mov_b32_e32 v18, v2
	v_add_co_u32_e32 v0, vcc, v95, v0
	v_addc_co_u32_e32 v1, vcc, v96, v1, vcc
	global_store_dwordx4 v[0:1], v[4:7], off
	v_lshlrev_b64 v[0:1], 4, v[17:18]
	v_add_co_u32_e32 v0, vcc, v95, v0
	v_addc_co_u32_e32 v1, vcc, v96, v1, vcc
	global_store_dwordx4 v[0:1], v[12:15], off
	s_endpgm
	.section	.rodata,"a",@progbits
	.p2align	6, 0x0
	.amdhsa_kernel fft_rtc_fwd_len160_factors_4_10_4_wgs_192_tpt_16_dp_op_CI_CI_sbcc_twdbase8_2step_dirReg
		.amdhsa_group_segment_fixed_size 0
		.amdhsa_private_segment_fixed_size 0
		.amdhsa_kernarg_size 112
		.amdhsa_user_sgpr_count 6
		.amdhsa_user_sgpr_private_segment_buffer 1
		.amdhsa_user_sgpr_dispatch_ptr 0
		.amdhsa_user_sgpr_queue_ptr 0
		.amdhsa_user_sgpr_kernarg_segment_ptr 1
		.amdhsa_user_sgpr_dispatch_id 0
		.amdhsa_user_sgpr_flat_scratch_init 0
		.amdhsa_user_sgpr_private_segment_size 0
		.amdhsa_uses_dynamic_stack 0
		.amdhsa_system_sgpr_private_segment_wavefront_offset 0
		.amdhsa_system_sgpr_workgroup_id_x 1
		.amdhsa_system_sgpr_workgroup_id_y 0
		.amdhsa_system_sgpr_workgroup_id_z 0
		.amdhsa_system_sgpr_workgroup_info 0
		.amdhsa_system_vgpr_workitem_id 0
		.amdhsa_next_free_vgpr 113
		.amdhsa_next_free_sgpr 57
		.amdhsa_reserve_vcc 1
		.amdhsa_reserve_flat_scratch 0
		.amdhsa_float_round_mode_32 0
		.amdhsa_float_round_mode_16_64 0
		.amdhsa_float_denorm_mode_32 3
		.amdhsa_float_denorm_mode_16_64 3
		.amdhsa_dx10_clamp 1
		.amdhsa_ieee_mode 1
		.amdhsa_fp16_overflow 0
		.amdhsa_exception_fp_ieee_invalid_op 0
		.amdhsa_exception_fp_denorm_src 0
		.amdhsa_exception_fp_ieee_div_zero 0
		.amdhsa_exception_fp_ieee_overflow 0
		.amdhsa_exception_fp_ieee_underflow 0
		.amdhsa_exception_fp_ieee_inexact 0
		.amdhsa_exception_int_div_zero 0
	.end_amdhsa_kernel
	.text
.Lfunc_end0:
	.size	fft_rtc_fwd_len160_factors_4_10_4_wgs_192_tpt_16_dp_op_CI_CI_sbcc_twdbase8_2step_dirReg, .Lfunc_end0-fft_rtc_fwd_len160_factors_4_10_4_wgs_192_tpt_16_dp_op_CI_CI_sbcc_twdbase8_2step_dirReg
                                        ; -- End function
	.section	.AMDGPU.csdata,"",@progbits
; Kernel info:
; codeLenInByte = 9216
; NumSgprs: 61
; NumVgprs: 113
; ScratchSize: 0
; MemoryBound: 1
; FloatMode: 240
; IeeeMode: 1
; LDSByteSize: 0 bytes/workgroup (compile time only)
; SGPRBlocks: 7
; VGPRBlocks: 28
; NumSGPRsForWavesPerEU: 61
; NumVGPRsForWavesPerEU: 113
; Occupancy: 2
; WaveLimiterHint : 1
; COMPUTE_PGM_RSRC2:SCRATCH_EN: 0
; COMPUTE_PGM_RSRC2:USER_SGPR: 6
; COMPUTE_PGM_RSRC2:TRAP_HANDLER: 0
; COMPUTE_PGM_RSRC2:TGID_X_EN: 1
; COMPUTE_PGM_RSRC2:TGID_Y_EN: 0
; COMPUTE_PGM_RSRC2:TGID_Z_EN: 0
; COMPUTE_PGM_RSRC2:TIDIG_COMP_CNT: 0
	.type	__hip_cuid_d527812f6bfa192f,@object ; @__hip_cuid_d527812f6bfa192f
	.section	.bss,"aw",@nobits
	.globl	__hip_cuid_d527812f6bfa192f
__hip_cuid_d527812f6bfa192f:
	.byte	0                               ; 0x0
	.size	__hip_cuid_d527812f6bfa192f, 1

	.ident	"AMD clang version 19.0.0git (https://github.com/RadeonOpenCompute/llvm-project roc-6.4.0 25133 c7fe45cf4b819c5991fe208aaa96edf142730f1d)"
	.section	".note.GNU-stack","",@progbits
	.addrsig
	.addrsig_sym __hip_cuid_d527812f6bfa192f
	.amdgpu_metadata
---
amdhsa.kernels:
  - .args:
      - .actual_access:  read_only
        .address_space:  global
        .offset:         0
        .size:           8
        .value_kind:     global_buffer
      - .address_space:  global
        .offset:         8
        .size:           8
        .value_kind:     global_buffer
      - .offset:         16
        .size:           8
        .value_kind:     by_value
      - .actual_access:  read_only
        .address_space:  global
        .offset:         24
        .size:           8
        .value_kind:     global_buffer
      - .actual_access:  read_only
        .address_space:  global
        .offset:         32
        .size:           8
        .value_kind:     global_buffer
      - .actual_access:  read_only
        .address_space:  global
        .offset:         40
        .size:           8
        .value_kind:     global_buffer
      - .offset:         48
        .size:           8
        .value_kind:     by_value
      - .actual_access:  read_only
        .address_space:  global
        .offset:         56
        .size:           8
        .value_kind:     global_buffer
      - .actual_access:  read_only
        .address_space:  global
        .offset:         64
        .size:           8
        .value_kind:     global_buffer
      - .offset:         72
        .size:           4
        .value_kind:     by_value
      - .actual_access:  read_only
        .address_space:  global
        .offset:         80
        .size:           8
        .value_kind:     global_buffer
      - .actual_access:  read_only
        .address_space:  global
        .offset:         88
        .size:           8
        .value_kind:     global_buffer
      - .actual_access:  read_only
        .address_space:  global
        .offset:         96
        .size:           8
        .value_kind:     global_buffer
      - .actual_access:  write_only
        .address_space:  global
        .offset:         104
        .size:           8
        .value_kind:     global_buffer
    .group_segment_fixed_size: 0
    .kernarg_segment_align: 8
    .kernarg_segment_size: 112
    .language:       OpenCL C
    .language_version:
      - 2
      - 0
    .max_flat_workgroup_size: 192
    .name:           fft_rtc_fwd_len160_factors_4_10_4_wgs_192_tpt_16_dp_op_CI_CI_sbcc_twdbase8_2step_dirReg
    .private_segment_fixed_size: 0
    .sgpr_count:     61
    .sgpr_spill_count: 0
    .symbol:         fft_rtc_fwd_len160_factors_4_10_4_wgs_192_tpt_16_dp_op_CI_CI_sbcc_twdbase8_2step_dirReg.kd
    .uniform_work_group_size: 1
    .uses_dynamic_stack: false
    .vgpr_count:     113
    .vgpr_spill_count: 0
    .wavefront_size: 64
amdhsa.target:   amdgcn-amd-amdhsa--gfx906
amdhsa.version:
  - 1
  - 2
...

	.end_amdgpu_metadata
